;; amdgpu-corpus repo=ROCm/rocFFT kind=compiled arch=gfx1201 opt=O3
	.text
	.amdgcn_target "amdgcn-amd-amdhsa--gfx1201"
	.amdhsa_code_object_version 6
	.protected	fft_rtc_back_len63_factors_3_3_7_wgs_252_tpt_21_half_ip_CI_unitstride_sbrr_dirReg ; -- Begin function fft_rtc_back_len63_factors_3_3_7_wgs_252_tpt_21_half_ip_CI_unitstride_sbrr_dirReg
	.globl	fft_rtc_back_len63_factors_3_3_7_wgs_252_tpt_21_half_ip_CI_unitstride_sbrr_dirReg
	.p2align	8
	.type	fft_rtc_back_len63_factors_3_3_7_wgs_252_tpt_21_half_ip_CI_unitstride_sbrr_dirReg,@function
fft_rtc_back_len63_factors_3_3_7_wgs_252_tpt_21_half_ip_CI_unitstride_sbrr_dirReg: ; @fft_rtc_back_len63_factors_3_3_7_wgs_252_tpt_21_half_ip_CI_unitstride_sbrr_dirReg
; %bb.0:
	s_load_b128 s[4:7], s[0:1], 0x0
	v_mul_u32_u24_e32 v1, 0xc31, v0
	s_clause 0x1
	s_load_b64 s[8:9], s[0:1], 0x50
	s_load_b64 s[10:11], s[0:1], 0x18
	v_mov_b32_e32 v3, 0
	v_lshrrev_b32_e32 v1, 16, v1
	s_delay_alu instid0(VALU_DEP_1) | instskip(SKIP_3) | instid1(VALU_DEP_1)
	v_mad_co_u64_u32 v[5:6], null, ttmp9, 12, v[1:2]
	v_mov_b32_e32 v1, 0
	v_mov_b32_e32 v2, 0
	;; [unrolled: 1-line block ×3, first 2 shown]
	v_dual_mov_b32 v9, v6 :: v_dual_mov_b32 v8, v5
	s_wait_kmcnt 0x0
	v_cmp_lt_u64_e64 s2, s[6:7], 2
	s_delay_alu instid0(VALU_DEP_1)
	s_and_b32 vcc_lo, exec_lo, s2
	s_cbranch_vccnz .LBB0_8
; %bb.1:
	s_load_b64 s[2:3], s[0:1], 0x10
	v_mov_b32_e32 v7, v6
	v_dual_mov_b32 v1, 0 :: v_dual_mov_b32 v6, v5
	v_mov_b32_e32 v2, 0
	s_add_nc_u64 s[12:13], s[10:11], 8
	s_mov_b64 s[14:15], 1
	s_wait_kmcnt 0x0
	s_add_nc_u64 s[16:17], s[2:3], 8
	s_mov_b32 s3, 0
.LBB0_2:                                ; =>This Inner Loop Header: Depth=1
	s_load_b64 s[18:19], s[16:17], 0x0
                                        ; implicit-def: $vgpr8_vgpr9
	s_mov_b32 s2, exec_lo
	s_wait_kmcnt 0x0
	v_or_b32_e32 v4, s19, v7
	s_delay_alu instid0(VALU_DEP_1)
	v_cmpx_ne_u64_e32 0, v[3:4]
	s_wait_alu 0xfffe
	s_xor_b32 s20, exec_lo, s2
	s_cbranch_execz .LBB0_4
; %bb.3:                                ;   in Loop: Header=BB0_2 Depth=1
	s_cvt_f32_u32 s2, s18
	s_cvt_f32_u32 s21, s19
	s_sub_nc_u64 s[24:25], 0, s[18:19]
	s_wait_alu 0xfffe
	s_delay_alu instid0(SALU_CYCLE_1) | instskip(SKIP_1) | instid1(SALU_CYCLE_2)
	s_fmamk_f32 s2, s21, 0x4f800000, s2
	s_wait_alu 0xfffe
	v_s_rcp_f32 s2, s2
	s_delay_alu instid0(TRANS32_DEP_1) | instskip(SKIP_1) | instid1(SALU_CYCLE_2)
	s_mul_f32 s2, s2, 0x5f7ffffc
	s_wait_alu 0xfffe
	s_mul_f32 s21, s2, 0x2f800000
	s_wait_alu 0xfffe
	s_delay_alu instid0(SALU_CYCLE_2) | instskip(SKIP_1) | instid1(SALU_CYCLE_2)
	s_trunc_f32 s21, s21
	s_wait_alu 0xfffe
	s_fmamk_f32 s2, s21, 0xcf800000, s2
	s_cvt_u32_f32 s23, s21
	s_wait_alu 0xfffe
	s_delay_alu instid0(SALU_CYCLE_1) | instskip(SKIP_1) | instid1(SALU_CYCLE_2)
	s_cvt_u32_f32 s22, s2
	s_wait_alu 0xfffe
	s_mul_u64 s[26:27], s[24:25], s[22:23]
	s_wait_alu 0xfffe
	s_mul_hi_u32 s29, s22, s27
	s_mul_i32 s28, s22, s27
	s_mul_hi_u32 s2, s22, s26
	s_mul_i32 s30, s23, s26
	s_wait_alu 0xfffe
	s_add_nc_u64 s[28:29], s[2:3], s[28:29]
	s_mul_hi_u32 s21, s23, s26
	s_mul_hi_u32 s31, s23, s27
	s_add_co_u32 s2, s28, s30
	s_wait_alu 0xfffe
	s_add_co_ci_u32 s2, s29, s21
	s_mul_i32 s26, s23, s27
	s_add_co_ci_u32 s27, s31, 0
	s_wait_alu 0xfffe
	s_add_nc_u64 s[26:27], s[2:3], s[26:27]
	s_wait_alu 0xfffe
	v_add_co_u32 v4, s2, s22, s26
	s_delay_alu instid0(VALU_DEP_1) | instskip(SKIP_1) | instid1(VALU_DEP_1)
	s_cmp_lg_u32 s2, 0
	s_add_co_ci_u32 s23, s23, s27
	v_readfirstlane_b32 s22, v4
	s_wait_alu 0xfffe
	s_delay_alu instid0(VALU_DEP_1)
	s_mul_u64 s[24:25], s[24:25], s[22:23]
	s_wait_alu 0xfffe
	s_mul_hi_u32 s27, s22, s25
	s_mul_i32 s26, s22, s25
	s_mul_hi_u32 s2, s22, s24
	s_mul_i32 s28, s23, s24
	s_wait_alu 0xfffe
	s_add_nc_u64 s[26:27], s[2:3], s[26:27]
	s_mul_hi_u32 s21, s23, s24
	s_mul_hi_u32 s22, s23, s25
	s_wait_alu 0xfffe
	s_add_co_u32 s2, s26, s28
	s_add_co_ci_u32 s2, s27, s21
	s_mul_i32 s24, s23, s25
	s_add_co_ci_u32 s25, s22, 0
	s_wait_alu 0xfffe
	s_add_nc_u64 s[24:25], s[2:3], s[24:25]
	s_wait_alu 0xfffe
	v_add_co_u32 v4, s2, v4, s24
	s_delay_alu instid0(VALU_DEP_1) | instskip(SKIP_1) | instid1(VALU_DEP_1)
	s_cmp_lg_u32 s2, 0
	s_add_co_ci_u32 s2, s23, s25
	v_mul_hi_u32 v14, v6, v4
	s_wait_alu 0xfffe
	v_mad_co_u64_u32 v[8:9], null, v6, s2, 0
	v_mad_co_u64_u32 v[10:11], null, v7, v4, 0
	;; [unrolled: 1-line block ×3, first 2 shown]
	s_delay_alu instid0(VALU_DEP_3) | instskip(SKIP_1) | instid1(VALU_DEP_4)
	v_add_co_u32 v4, vcc_lo, v14, v8
	s_wait_alu 0xfffd
	v_add_co_ci_u32_e32 v8, vcc_lo, 0, v9, vcc_lo
	s_delay_alu instid0(VALU_DEP_2) | instskip(SKIP_1) | instid1(VALU_DEP_2)
	v_add_co_u32 v4, vcc_lo, v4, v10
	s_wait_alu 0xfffd
	v_add_co_ci_u32_e32 v4, vcc_lo, v8, v11, vcc_lo
	s_wait_alu 0xfffd
	v_add_co_ci_u32_e32 v8, vcc_lo, 0, v13, vcc_lo
	s_delay_alu instid0(VALU_DEP_2) | instskip(SKIP_1) | instid1(VALU_DEP_2)
	v_add_co_u32 v4, vcc_lo, v4, v12
	s_wait_alu 0xfffd
	v_add_co_ci_u32_e32 v10, vcc_lo, 0, v8, vcc_lo
	s_delay_alu instid0(VALU_DEP_2) | instskip(SKIP_1) | instid1(VALU_DEP_3)
	v_mul_lo_u32 v11, s19, v4
	v_mad_co_u64_u32 v[8:9], null, s18, v4, 0
	v_mul_lo_u32 v12, s18, v10
	s_delay_alu instid0(VALU_DEP_2) | instskip(NEXT) | instid1(VALU_DEP_2)
	v_sub_co_u32 v8, vcc_lo, v6, v8
	v_add3_u32 v9, v9, v12, v11
	s_delay_alu instid0(VALU_DEP_1) | instskip(SKIP_1) | instid1(VALU_DEP_1)
	v_sub_nc_u32_e32 v11, v7, v9
	s_wait_alu 0xfffd
	v_subrev_co_ci_u32_e64 v11, s2, s19, v11, vcc_lo
	v_add_co_u32 v12, s2, v4, 2
	s_wait_alu 0xf1ff
	v_add_co_ci_u32_e64 v13, s2, 0, v10, s2
	v_sub_co_u32 v14, s2, v8, s18
	v_sub_co_ci_u32_e32 v9, vcc_lo, v7, v9, vcc_lo
	s_wait_alu 0xf1ff
	v_subrev_co_ci_u32_e64 v11, s2, 0, v11, s2
	s_delay_alu instid0(VALU_DEP_3) | instskip(NEXT) | instid1(VALU_DEP_3)
	v_cmp_le_u32_e32 vcc_lo, s18, v14
	v_cmp_eq_u32_e64 s2, s19, v9
	s_wait_alu 0xfffd
	v_cndmask_b32_e64 v14, 0, -1, vcc_lo
	v_cmp_le_u32_e32 vcc_lo, s19, v11
	s_wait_alu 0xfffd
	v_cndmask_b32_e64 v15, 0, -1, vcc_lo
	v_cmp_le_u32_e32 vcc_lo, s18, v8
	;; [unrolled: 3-line block ×3, first 2 shown]
	s_wait_alu 0xfffd
	v_cndmask_b32_e64 v16, 0, -1, vcc_lo
	v_cmp_eq_u32_e32 vcc_lo, s19, v11
	s_wait_alu 0xf1ff
	s_delay_alu instid0(VALU_DEP_2)
	v_cndmask_b32_e64 v8, v16, v8, s2
	s_wait_alu 0xfffd
	v_cndmask_b32_e32 v11, v15, v14, vcc_lo
	v_add_co_u32 v14, vcc_lo, v4, 1
	s_wait_alu 0xfffd
	v_add_co_ci_u32_e32 v15, vcc_lo, 0, v10, vcc_lo
	s_delay_alu instid0(VALU_DEP_3) | instskip(SKIP_2) | instid1(VALU_DEP_3)
	v_cmp_ne_u32_e32 vcc_lo, 0, v11
	s_wait_alu 0xfffd
	v_cndmask_b32_e32 v11, v14, v12, vcc_lo
	v_cndmask_b32_e32 v9, v15, v13, vcc_lo
	v_cmp_ne_u32_e32 vcc_lo, 0, v8
	s_wait_alu 0xfffd
	s_delay_alu instid0(VALU_DEP_2)
	v_dual_cndmask_b32 v8, v4, v11 :: v_dual_cndmask_b32 v9, v10, v9
.LBB0_4:                                ;   in Loop: Header=BB0_2 Depth=1
	s_wait_alu 0xfffe
	s_and_not1_saveexec_b32 s2, s20
	s_cbranch_execz .LBB0_6
; %bb.5:                                ;   in Loop: Header=BB0_2 Depth=1
	v_cvt_f32_u32_e32 v4, s18
	s_sub_co_i32 s20, 0, s18
	s_delay_alu instid0(VALU_DEP_1) | instskip(NEXT) | instid1(TRANS32_DEP_1)
	v_rcp_iflag_f32_e32 v4, v4
	v_mul_f32_e32 v4, 0x4f7ffffe, v4
	s_delay_alu instid0(VALU_DEP_1) | instskip(SKIP_1) | instid1(VALU_DEP_1)
	v_cvt_u32_f32_e32 v4, v4
	s_wait_alu 0xfffe
	v_mul_lo_u32 v8, s20, v4
	s_delay_alu instid0(VALU_DEP_1) | instskip(NEXT) | instid1(VALU_DEP_1)
	v_mul_hi_u32 v8, v4, v8
	v_add_nc_u32_e32 v4, v4, v8
	s_delay_alu instid0(VALU_DEP_1) | instskip(NEXT) | instid1(VALU_DEP_1)
	v_mul_hi_u32 v4, v6, v4
	v_mul_lo_u32 v8, v4, s18
	s_delay_alu instid0(VALU_DEP_1) | instskip(NEXT) | instid1(VALU_DEP_1)
	v_sub_nc_u32_e32 v8, v6, v8
	v_subrev_nc_u32_e32 v10, s18, v8
	v_cmp_le_u32_e32 vcc_lo, s18, v8
	s_wait_alu 0xfffd
	s_delay_alu instid0(VALU_DEP_2) | instskip(NEXT) | instid1(VALU_DEP_1)
	v_dual_cndmask_b32 v8, v8, v10 :: v_dual_add_nc_u32 v9, 1, v4
	v_cndmask_b32_e32 v4, v4, v9, vcc_lo
	s_delay_alu instid0(VALU_DEP_2) | instskip(NEXT) | instid1(VALU_DEP_2)
	v_cmp_le_u32_e32 vcc_lo, s18, v8
	v_add_nc_u32_e32 v9, 1, v4
	s_wait_alu 0xfffd
	s_delay_alu instid0(VALU_DEP_1)
	v_dual_cndmask_b32 v8, v4, v9 :: v_dual_mov_b32 v9, v3
.LBB0_6:                                ;   in Loop: Header=BB0_2 Depth=1
	s_wait_alu 0xfffe
	s_or_b32 exec_lo, exec_lo, s2
	s_load_b64 s[20:21], s[12:13], 0x0
	s_delay_alu instid0(VALU_DEP_1)
	v_mul_lo_u32 v4, v9, s18
	v_mul_lo_u32 v12, v8, s19
	v_mad_co_u64_u32 v[10:11], null, v8, s18, 0
	s_add_nc_u64 s[14:15], s[14:15], 1
	s_add_nc_u64 s[12:13], s[12:13], 8
	s_wait_alu 0xfffe
	v_cmp_ge_u64_e64 s2, s[14:15], s[6:7]
	s_add_nc_u64 s[16:17], s[16:17], 8
	s_delay_alu instid0(VALU_DEP_2) | instskip(NEXT) | instid1(VALU_DEP_3)
	v_add3_u32 v4, v11, v12, v4
	v_sub_co_u32 v6, vcc_lo, v6, v10
	s_wait_alu 0xfffd
	s_delay_alu instid0(VALU_DEP_2) | instskip(SKIP_3) | instid1(VALU_DEP_2)
	v_sub_co_ci_u32_e32 v4, vcc_lo, v7, v4, vcc_lo
	s_and_b32 vcc_lo, exec_lo, s2
	s_wait_kmcnt 0x0
	v_mul_lo_u32 v7, s21, v6
	v_mul_lo_u32 v4, s20, v4
	v_mad_co_u64_u32 v[1:2], null, s20, v6, v[1:2]
	s_delay_alu instid0(VALU_DEP_1)
	v_add3_u32 v2, v7, v2, v4
	s_wait_alu 0xfffe
	s_cbranch_vccnz .LBB0_8
; %bb.7:                                ;   in Loop: Header=BB0_2 Depth=1
	v_dual_mov_b32 v6, v8 :: v_dual_mov_b32 v7, v9
	s_branch .LBB0_2
.LBB0_8:
	s_lshl_b64 s[2:3], s[6:7], 3
	v_mul_hi_u32 v6, 0xc30c30d, v0
	s_wait_alu 0xfffe
	s_add_nc_u64 s[2:3], s[10:11], s[2:3]
                                        ; implicit-def: $vgpr7
	s_load_b64 s[2:3], s[2:3], 0x0
	s_load_b64 s[0:1], s[0:1], 0x20
	s_wait_kmcnt 0x0
	v_mul_lo_u32 v3, s2, v9
	v_mul_lo_u32 v4, s3, v8
	v_mad_co_u64_u32 v[1:2], null, s2, v8, v[1:2]
	v_cmp_gt_u64_e32 vcc_lo, s[0:1], v[8:9]
	s_delay_alu instid0(VALU_DEP_2) | instskip(SKIP_1) | instid1(VALU_DEP_2)
	v_add3_u32 v2, v4, v2, v3
	v_mul_u32_u24_e32 v3, 21, v6
                                        ; implicit-def: $vgpr6
	v_lshlrev_b64_e32 v[1:2], 2, v[1:2]
	s_delay_alu instid0(VALU_DEP_2)
	v_sub_nc_u32_e32 v3, v0, v3
                                        ; implicit-def: $vgpr0
	s_and_saveexec_b32 s1, vcc_lo
; %bb.9:
	v_mov_b32_e32 v4, 0
	s_delay_alu instid0(VALU_DEP_3) | instskip(NEXT) | instid1(VALU_DEP_2)
	v_add_co_u32 v0, s0, s8, v1
	v_lshlrev_b64_e32 v[6:7], 2, v[3:4]
	s_wait_alu 0xf1ff
	v_add_co_ci_u32_e64 v4, s0, s9, v2, s0
	s_delay_alu instid0(VALU_DEP_2) | instskip(SKIP_1) | instid1(VALU_DEP_2)
	v_add_co_u32 v8, s0, v0, v6
	s_wait_alu 0xf1ff
	v_add_co_ci_u32_e64 v9, s0, v4, v7, s0
	s_clause 0x2
	global_load_b32 v6, v[8:9], off
	global_load_b32 v7, v[8:9], off offset:84
	global_load_b32 v0, v[8:9], off offset:168
; %bb.10:
	s_wait_alu 0xfffe
	s_or_b32 exec_lo, exec_lo, s1
	v_mul_hi_u32 v4, 0xaaaaaaab, v5
	s_wait_loadcnt 0x0
	v_pk_add_f16 v10, v7, v0 neg_lo:[0,1] neg_hi:[0,1]
	v_cmp_gt_u32_e64 s0, 9, v3
	s_delay_alu instid0(VALU_DEP_3) | instskip(NEXT) | instid1(VALU_DEP_1)
	v_lshrrev_b32_e32 v4, 3, v4
	v_mul_lo_u32 v8, v4, 12
	v_and_b32_e32 v4, 0xff, v3
	s_delay_alu instid0(VALU_DEP_1) | instskip(NEXT) | instid1(VALU_DEP_3)
	v_mul_lo_u16 v9, 0xab, v4
	v_sub_nc_u32_e32 v5, v5, v8
	v_pk_add_f16 v8, v7, v0
	s_delay_alu instid0(VALU_DEP_3) | instskip(SKIP_1) | instid1(VALU_DEP_4)
	v_lshrrev_b16 v12, 9, v9
	v_pk_mul_f16 v9, 0x3aee, v10 op_sel_hi:[0,1]
	v_mul_u32_u24_e32 v5, 63, v5
	s_delay_alu instid0(VALU_DEP_4) | instskip(NEXT) | instid1(VALU_DEP_4)
	v_pk_fma_f16 v8, v8, -0.5, v6 op_sel_hi:[1,0,1]
	v_mul_lo_u16 v10, v12, 3
	v_and_b32_e32 v12, 0xffff, v12
	s_delay_alu instid0(VALU_DEP_4)
	v_lshlrev_b32_e32 v14, 2, v5
	v_pk_add_f16 v5, v6, v7
	v_pk_add_f16 v6, v8, v9 op_sel:[0,1] op_sel_hi:[1,0] neg_lo:[0,1] neg_hi:[0,1]
	v_pk_add_f16 v7, v8, v9 op_sel:[0,1] op_sel_hi:[1,0]
	v_sub_nc_u16 v8, v3, v10
	v_add_nc_u32_e32 v9, 0, v14
	v_pk_add_f16 v0, v5, v0
	v_mad_u32_u24 v20, v12, 36, 0
	v_bfi_b32 v5, 0xffff, v6, v7
	v_and_b32_e32 v8, 0xff, v8
	v_mad_u32_u24 v10, v3, 12, v9
	v_bfi_b32 v6, 0xffff, v7, v6
	v_lshl_add_u32 v9, v3, 2, v9
	ds_store_2addr_b32 v10, v0, v5 offset1:1
	ds_store_b32 v10, v6 offset:8
	v_lshlrev_b32_e32 v7, 3, v8
	global_wb scope:SCOPE_SE
	s_wait_dscnt 0x0
	s_barrier_signal -1
	s_barrier_wait -1
	global_inv scope:SCOPE_SE
	global_load_b64 v[5:6], v7, s[4:5]
	v_lshlrev_b32_e32 v0, 3, v3
	v_lshlrev_b32_e32 v8, 2, v8
	s_delay_alu instid0(VALU_DEP_2)
	v_sub_nc_u32_e32 v7, v10, v0
	ds_load_b32 v0, v9
	v_add3_u32 v8, v20, v8, v14
	ds_load_2addr_b32 v[10:11], v7 offset0:21 offset1:42
	global_wb scope:SCOPE_SE
	s_wait_loadcnt_dscnt 0x0
	s_barrier_signal -1
	s_barrier_wait -1
	global_inv scope:SCOPE_SE
	v_lshrrev_b32_e32 v12, 16, v0
	v_lshrrev_b32_e32 v13, 16, v10
	;; [unrolled: 1-line block ×5, first 2 shown]
	s_delay_alu instid0(VALU_DEP_2) | instskip(NEXT) | instid1(VALU_DEP_2)
	v_mul_f16_e32 v18, v16, v13
	v_mul_f16_e32 v19, v17, v15
	;; [unrolled: 1-line block ×4, first 2 shown]
	s_delay_alu instid0(VALU_DEP_4) | instskip(NEXT) | instid1(VALU_DEP_4)
	v_fmac_f16_e32 v18, v5, v10
	v_fmac_f16_e32 v19, v6, v11
	s_delay_alu instid0(VALU_DEP_4) | instskip(NEXT) | instid1(VALU_DEP_4)
	v_fma_f16 v5, v5, v13, -v16
	v_fma_f16 v10, v6, v15, -v17
                                        ; implicit-def: $vgpr17
	s_delay_alu instid0(VALU_DEP_4) | instskip(NEXT) | instid1(VALU_DEP_4)
	v_add_f16_e32 v11, v18, v0
	v_add_f16_e32 v6, v18, v19
	v_sub_f16_e32 v16, v18, v19
	s_delay_alu instid0(VALU_DEP_4)
	v_add_f16_e32 v13, v5, v10
	v_sub_f16_e32 v15, v5, v10
	v_add_f16_e32 v5, v5, v12
	v_fma_f16 v6, -0.5, v6, v0
	v_add_f16_e32 v0, v11, v19
	v_fmac_f16_e32 v12, -0.5, v13
	s_delay_alu instid0(VALU_DEP_4) | instskip(NEXT) | instid1(VALU_DEP_4)
	v_add_f16_e32 v11, v5, v10
	v_fmamk_f16 v5, v15, 0xbaee, v6
	v_fmac_f16_e32 v6, 0x3aee, v15
	s_delay_alu instid0(VALU_DEP_4) | instskip(SKIP_2) | instid1(VALU_DEP_3)
	v_fmamk_f16 v13, v16, 0x3aee, v12
	v_fmac_f16_e32 v12, 0xbaee, v16
	v_pack_b32_f16 v10, v0, v11
                                        ; implicit-def: $vgpr16
	v_pack_b32_f16 v14, v5, v13
	s_delay_alu instid0(VALU_DEP_3)
	v_pack_b32_f16 v15, v6, v12
	ds_store_2addr_b32 v8, v10, v14 offset1:3
	ds_store_b32 v8, v15 offset:24
	global_wb scope:SCOPE_SE
	s_wait_dscnt 0x0
	s_barrier_signal -1
	s_barrier_wait -1
	global_inv scope:SCOPE_SE
                                        ; implicit-def: $vgpr8
                                        ; implicit-def: $vgpr14
                                        ; implicit-def: $vgpr15
                                        ; implicit-def: $vgpr10
	s_and_saveexec_b32 s1, s0
	s_cbranch_execnz .LBB0_13
; %bb.11:
	s_wait_alu 0xfffe
	s_or_b32 exec_lo, exec_lo, s1
	s_and_b32 s0, vcc_lo, s0
	s_wait_alu 0xfffe
	s_and_saveexec_b32 s1, s0
	s_cbranch_execnz .LBB0_14
.LBB0_12:
	s_endpgm
.LBB0_13:
	ds_load_b32 v0, v9
	ds_load_2addr_b32 v[5:6], v7 offset0:9 offset1:18
	ds_load_2addr_b32 v[9:10], v7 offset0:27 offset1:36
	;; [unrolled: 1-line block ×3, first 2 shown]
	s_wait_dscnt 0x3
	v_lshrrev_b32_e32 v11, 16, v0
	s_wait_dscnt 0x2
	v_lshrrev_b32_e32 v13, 16, v5
	v_lshrrev_b32_e32 v12, 16, v6
	s_wait_dscnt 0x1
	v_lshrrev_b32_e32 v16, 16, v9
	;; [unrolled: 3-line block ×3, first 2 shown]
	v_lshrrev_b32_e32 v17, 16, v8
	s_wait_alu 0xfffe
	s_or_b32 exec_lo, exec_lo, s1
	s_and_b32 s0, vcc_lo, s0
	s_wait_alu 0xfffe
	s_and_saveexec_b32 s1, s0
	s_cbranch_execz .LBB0_12
.LBB0_14:
	v_mul_lo_u16 v4, v4, 57
	v_add_co_u32 v1, vcc_lo, s8, v1
	s_wait_alu 0xfffd
	v_add_co_ci_u32_e32 v2, vcc_lo, s9, v2, vcc_lo
	s_delay_alu instid0(VALU_DEP_3) | instskip(NEXT) | instid1(VALU_DEP_1)
	v_lshrrev_b16 v4, 9, v4
	v_mul_lo_u16 v4, v4, 9
	s_delay_alu instid0(VALU_DEP_1) | instskip(NEXT) | instid1(VALU_DEP_1)
	v_sub_nc_u16 v4, v3, v4
	v_mul_lo_u16 v4, v4, 6
	s_delay_alu instid0(VALU_DEP_1) | instskip(NEXT) | instid1(VALU_DEP_1)
	v_and_b32_e32 v4, 0xfe, v4
	v_lshlrev_b32_e32 v4, 2, v4
	s_clause 0x1
	global_load_b128 v[18:21], v4, s[4:5] offset:24
	global_load_b64 v[22:23], v4, s[4:5] offset:40
	v_mov_b32_e32 v4, 0
	s_delay_alu instid0(VALU_DEP_1) | instskip(NEXT) | instid1(VALU_DEP_1)
	v_lshlrev_b64_e32 v[3:4], 2, v[3:4]
	v_add_co_u32 v1, vcc_lo, v1, v3
	s_wait_alu 0xfffd
	s_delay_alu instid0(VALU_DEP_2)
	v_add_co_ci_u32_e32 v2, vcc_lo, v2, v4, vcc_lo
	s_wait_loadcnt 0x1
	v_lshrrev_b32_e32 v3, 16, v18
	v_lshrrev_b32_e32 v4, 16, v19
	s_wait_loadcnt 0x0
	v_lshrrev_b32_e32 v24, 16, v23
	v_lshrrev_b32_e32 v27, 16, v22
	;; [unrolled: 1-line block ×4, first 2 shown]
	v_mul_f16_e32 v28, v13, v3
	v_mul_f16_e32 v29, v17, v24
	v_mul_f16_e32 v32, v12, v4
	v_mul_f16_e32 v33, v14, v27
	v_mul_f16_e32 v24, v8, v24
	v_mul_f16_e32 v3, v5, v3
	v_mul_f16_e32 v27, v7, v27
	v_mul_f16_e32 v4, v6, v4
	v_mul_f16_e32 v30, v15, v25
	v_mul_f16_e32 v31, v16, v26
	v_mul_f16_e32 v26, v9, v26
	v_mul_f16_e32 v25, v10, v25
	v_fmac_f16_e32 v28, v5, v18
	v_fmac_f16_e32 v29, v8, v23
	;; [unrolled: 1-line block ×4, first 2 shown]
	v_fma_f16 v5, v17, v23, -v24
	v_fma_f16 v3, v13, v18, -v3
	;; [unrolled: 1-line block ×4, first 2 shown]
	v_fmac_f16_e32 v30, v10, v21
	v_fmac_f16_e32 v31, v9, v20
	v_fma_f16 v6, v16, v20, -v26
	v_fma_f16 v7, v15, v21, -v25
	v_add_f16_e32 v13, v3, v5
	v_add_f16_e32 v15, v4, v8
	;; [unrolled: 1-line block ×4, first 2 shown]
	v_sub_f16_e32 v9, v28, v29
	v_sub_f16_e32 v10, v30, v31
	v_sub_f16_e32 v12, v32, v33
	v_add_f16_e32 v14, v7, v6
	v_add_f16_e32 v17, v30, v31
	v_sub_f16_e32 v3, v3, v5
	v_sub_f16_e32 v5, v7, v6
	v_sub_f16_e32 v4, v4, v8
	v_add_f16_e32 v20, v13, v15
	v_add_f16_e32 v23, v16, v18
	v_sub_f16_e32 v6, v9, v10
	v_sub_f16_e32 v7, v10, v12
	v_add_f16_e32 v8, v10, v12
	v_sub_f16_e32 v10, v13, v14
	v_sub_f16_e32 v19, v14, v15
	;; [unrolled: 1-line block ×6, first 2 shown]
	v_add_f16_e32 v5, v5, v4
	v_sub_f16_e32 v12, v12, v9
	v_sub_f16_e32 v4, v4, v3
	v_add_f16_e32 v14, v14, v20
	v_add_f16_e32 v17, v17, v23
	v_sub_f16_e32 v13, v15, v13
	v_sub_f16_e32 v15, v18, v16
	v_mul_f16_e32 v7, 0x3846, v7
	v_add_f16_e32 v8, v9, v8
	v_mul_f16_e32 v9, 0x3a52, v10
	v_mul_f16_e32 v16, 0x2b26, v19
	;; [unrolled: 1-line block ×5, first 2 shown]
	v_add_f16_e32 v3, v3, v5
	v_mul_f16_e32 v5, 0xbb00, v12
	v_mul_f16_e32 v22, 0xbb00, v4
	v_add_f16_e32 v11, v11, v14
	v_add_f16_e32 v0, v0, v17
	v_fmamk_f16 v23, v6, 0xb574, v7
	v_fmamk_f16 v10, v10, 0x3a52, v16
	;; [unrolled: 1-line block ×4, first 2 shown]
	v_fma_f16 v5, v6, 0x3574, -v5
	v_fma_f16 v6, v13, 0xb9e0, -v9
	;; [unrolled: 1-line block ×7, first 2 shown]
	v_fmamk_f16 v14, v14, 0xbcab, v11
	v_fmamk_f16 v15, v17, 0xbcab, v0
	v_fma_f16 v13, v13, 0x39e0, -v16
	v_fmac_f16_e32 v23, 0xb70e, v8
	v_fmac_f16_e32 v25, 0xb70e, v3
	;; [unrolled: 1-line block ×6, first 2 shown]
	v_add_f16_e32 v3, v10, v14
	v_add_f16_e32 v8, v21, v15
	;; [unrolled: 1-line block ×4, first 2 shown]
	v_pack_b32_f16 v0, v0, v11
	v_add_f16_e32 v10, v13, v14
	v_add_f16_e32 v11, v12, v15
	;; [unrolled: 1-line block ×4, first 2 shown]
	v_sub_f16_e32 v5, v6, v5
	v_sub_f16_e32 v3, v3, v23
	v_add_f16_e32 v6, v25, v8
	v_sub_f16_e32 v13, v8, v25
	v_add_f16_e32 v8, v18, v9
	;; [unrolled: 2-line block ×4, first 2 shown]
	v_sub_f16_e32 v9, v9, v18
	v_pack_b32_f16 v3, v6, v3
	v_pack_b32_f16 v5, v8, v5
	;; [unrolled: 1-line block ×6, first 2 shown]
	s_clause 0x6
	global_store_b32 v[1:2], v0, off
	global_store_b32 v[1:2], v3, off offset:36
	global_store_b32 v[1:2], v5, off offset:72
	;; [unrolled: 1-line block ×6, first 2 shown]
	s_nop 0
	s_sendmsg sendmsg(MSG_DEALLOC_VGPRS)
	s_endpgm
	.section	.rodata,"a",@progbits
	.p2align	6, 0x0
	.amdhsa_kernel fft_rtc_back_len63_factors_3_3_7_wgs_252_tpt_21_half_ip_CI_unitstride_sbrr_dirReg
		.amdhsa_group_segment_fixed_size 0
		.amdhsa_private_segment_fixed_size 0
		.amdhsa_kernarg_size 88
		.amdhsa_user_sgpr_count 2
		.amdhsa_user_sgpr_dispatch_ptr 0
		.amdhsa_user_sgpr_queue_ptr 0
		.amdhsa_user_sgpr_kernarg_segment_ptr 1
		.amdhsa_user_sgpr_dispatch_id 0
		.amdhsa_user_sgpr_private_segment_size 0
		.amdhsa_wavefront_size32 1
		.amdhsa_uses_dynamic_stack 0
		.amdhsa_enable_private_segment 0
		.amdhsa_system_sgpr_workgroup_id_x 1
		.amdhsa_system_sgpr_workgroup_id_y 0
		.amdhsa_system_sgpr_workgroup_id_z 0
		.amdhsa_system_sgpr_workgroup_info 0
		.amdhsa_system_vgpr_workitem_id 0
		.amdhsa_next_free_vgpr 34
		.amdhsa_next_free_sgpr 32
		.amdhsa_reserve_vcc 1
		.amdhsa_float_round_mode_32 0
		.amdhsa_float_round_mode_16_64 0
		.amdhsa_float_denorm_mode_32 3
		.amdhsa_float_denorm_mode_16_64 3
		.amdhsa_fp16_overflow 0
		.amdhsa_workgroup_processor_mode 1
		.amdhsa_memory_ordered 1
		.amdhsa_forward_progress 0
		.amdhsa_round_robin_scheduling 0
		.amdhsa_exception_fp_ieee_invalid_op 0
		.amdhsa_exception_fp_denorm_src 0
		.amdhsa_exception_fp_ieee_div_zero 0
		.amdhsa_exception_fp_ieee_overflow 0
		.amdhsa_exception_fp_ieee_underflow 0
		.amdhsa_exception_fp_ieee_inexact 0
		.amdhsa_exception_int_div_zero 0
	.end_amdhsa_kernel
	.text
.Lfunc_end0:
	.size	fft_rtc_back_len63_factors_3_3_7_wgs_252_tpt_21_half_ip_CI_unitstride_sbrr_dirReg, .Lfunc_end0-fft_rtc_back_len63_factors_3_3_7_wgs_252_tpt_21_half_ip_CI_unitstride_sbrr_dirReg
                                        ; -- End function
	.section	.AMDGPU.csdata,"",@progbits
; Kernel info:
; codeLenInByte = 3076
; NumSgprs: 34
; NumVgprs: 34
; ScratchSize: 0
; MemoryBound: 0
; FloatMode: 240
; IeeeMode: 1
; LDSByteSize: 0 bytes/workgroup (compile time only)
; SGPRBlocks: 4
; VGPRBlocks: 4
; NumSGPRsForWavesPerEU: 34
; NumVGPRsForWavesPerEU: 34
; Occupancy: 16
; WaveLimiterHint : 1
; COMPUTE_PGM_RSRC2:SCRATCH_EN: 0
; COMPUTE_PGM_RSRC2:USER_SGPR: 2
; COMPUTE_PGM_RSRC2:TRAP_HANDLER: 0
; COMPUTE_PGM_RSRC2:TGID_X_EN: 1
; COMPUTE_PGM_RSRC2:TGID_Y_EN: 0
; COMPUTE_PGM_RSRC2:TGID_Z_EN: 0
; COMPUTE_PGM_RSRC2:TIDIG_COMP_CNT: 0
	.text
	.p2alignl 7, 3214868480
	.fill 96, 4, 3214868480
	.type	__hip_cuid_30556764b879452,@object ; @__hip_cuid_30556764b879452
	.section	.bss,"aw",@nobits
	.globl	__hip_cuid_30556764b879452
__hip_cuid_30556764b879452:
	.byte	0                               ; 0x0
	.size	__hip_cuid_30556764b879452, 1

	.ident	"AMD clang version 19.0.0git (https://github.com/RadeonOpenCompute/llvm-project roc-6.4.0 25133 c7fe45cf4b819c5991fe208aaa96edf142730f1d)"
	.section	".note.GNU-stack","",@progbits
	.addrsig
	.addrsig_sym __hip_cuid_30556764b879452
	.amdgpu_metadata
---
amdhsa.kernels:
  - .args:
      - .actual_access:  read_only
        .address_space:  global
        .offset:         0
        .size:           8
        .value_kind:     global_buffer
      - .offset:         8
        .size:           8
        .value_kind:     by_value
      - .actual_access:  read_only
        .address_space:  global
        .offset:         16
        .size:           8
        .value_kind:     global_buffer
      - .actual_access:  read_only
        .address_space:  global
        .offset:         24
        .size:           8
        .value_kind:     global_buffer
      - .offset:         32
        .size:           8
        .value_kind:     by_value
      - .actual_access:  read_only
        .address_space:  global
        .offset:         40
        .size:           8
        .value_kind:     global_buffer
      - .actual_access:  read_only
        .address_space:  global
        .offset:         48
        .size:           8
        .value_kind:     global_buffer
      - .offset:         56
        .size:           4
        .value_kind:     by_value
      - .actual_access:  read_only
        .address_space:  global
        .offset:         64
        .size:           8
        .value_kind:     global_buffer
      - .actual_access:  read_only
        .address_space:  global
        .offset:         72
        .size:           8
        .value_kind:     global_buffer
      - .address_space:  global
        .offset:         80
        .size:           8
        .value_kind:     global_buffer
    .group_segment_fixed_size: 0
    .kernarg_segment_align: 8
    .kernarg_segment_size: 88
    .language:       OpenCL C
    .language_version:
      - 2
      - 0
    .max_flat_workgroup_size: 252
    .name:           fft_rtc_back_len63_factors_3_3_7_wgs_252_tpt_21_half_ip_CI_unitstride_sbrr_dirReg
    .private_segment_fixed_size: 0
    .sgpr_count:     34
    .sgpr_spill_count: 0
    .symbol:         fft_rtc_back_len63_factors_3_3_7_wgs_252_tpt_21_half_ip_CI_unitstride_sbrr_dirReg.kd
    .uniform_work_group_size: 1
    .uses_dynamic_stack: false
    .vgpr_count:     34
    .vgpr_spill_count: 0
    .wavefront_size: 32
    .workgroup_processor_mode: 1
amdhsa.target:   amdgcn-amd-amdhsa--gfx1201
amdhsa.version:
  - 1
  - 2
...

	.end_amdgpu_metadata
